;; amdgpu-corpus repo=zjin-lcf/HeCBench kind=compiled arch=gfx1250 opt=O3
	.amdgcn_target "amdgcn-amd-amdhsa--gfx1250"
	.amdhsa_code_object_version 6
	.text
	.protected	_Z22add_kernel_interleavedP13INTERLEAVED_TPKS_j ; -- Begin function _Z22add_kernel_interleavedP13INTERLEAVED_TPKS_j
	.globl	_Z22add_kernel_interleavedP13INTERLEAVED_TPKS_j
	.p2align	8
	.type	_Z22add_kernel_interleavedP13INTERLEAVED_TPKS_j,@function
_Z22add_kernel_interleavedP13INTERLEAVED_TPKS_j: ; @_Z22add_kernel_interleavedP13INTERLEAVED_TPKS_j
; %bb.0:
	s_clause 0x1
	s_load_b32 s2, s[0:1], 0x24
	s_load_b32 s3, s[0:1], 0x10
	s_bfe_u32 s4, ttmp6, 0x4000c
	s_and_b32 s5, ttmp6, 15
	s_add_co_i32 s4, s4, 1
	s_getreg_b32 s6, hwreg(HW_REG_IB_STS2, 6, 4)
	s_mul_i32 s4, ttmp9, s4
	s_delay_alu instid0(SALU_CYCLE_1) | instskip(SKIP_4) | instid1(SALU_CYCLE_1)
	s_add_co_i32 s5, s5, s4
	s_wait_kmcnt 0x0
	s_and_b32 s2, s2, 0xffff
	s_cmp_eq_u32 s6, 0
	s_cselect_b32 s4, ttmp9, s5
	v_mad_u32 v0, s4, s2, v0
	s_mov_b32 s2, exec_lo
	s_delay_alu instid0(VALU_DEP_1)
	v_cmpx_gt_u32_e64 s3, v0
	s_cbranch_execz .LBB0_3
; %bb.1:
	s_load_b128 s[0:3], s[0:1], 0x0
	v_mov_b32_e32 v1, 0
	s_delay_alu instid0(VALU_DEP_1) | instskip(SKIP_1) | instid1(VALU_DEP_1)
	v_lshlrev_b64_e32 v[18:19], 6, v[0:1]
	s_wait_kmcnt 0x0
	v_add_nc_u64_e32 v[16:17], s[0:1], v[18:19]
	v_add_nc_u64_e32 v[18:19], s[2:3], v[18:19]
	s_movk_i32 s0, 0x1000
	s_clause 0x3
	global_load_b128 v[8:11], v[16:17], off offset:48
	global_load_b128 v[12:15], v[16:17], off offset:32
	;; [unrolled: 1-line block ×3, first 2 shown]
	global_load_b128 v[0:3], v[16:17], off
.LBB0_2:                                ; =>This Inner Loop Header: Depth=1
	global_load_b64 v[20:21], v[18:19], off
	s_add_co_i32 s0, s0, -4
	s_delay_alu instid0(SALU_CYCLE_1)
	s_cmp_lg_u32 s0, 0
	s_wait_loadcnt 0x0
	s_wait_xcnt 0xf
	v_dual_add_nc_u32 v1, v1, v21 :: v_dual_add_nc_u32 v0, v0, v20
	global_store_b64 v[16:17], v[0:1], off
	global_load_b64 v[20:21], v[18:19], off offset:8
	s_wait_loadcnt 0x0
	s_wait_xcnt 0xf
	v_dual_add_nc_u32 v3, v3, v21 :: v_dual_add_nc_u32 v2, v2, v20
	global_store_b64 v[16:17], v[2:3], off offset:8
	global_load_b64 v[20:21], v[18:19], off offset:16
	s_wait_loadcnt 0x0
	s_wait_xcnt 0xf
	v_dual_add_nc_u32 v5, v5, v21 :: v_dual_add_nc_u32 v4, v4, v20
	global_store_b64 v[16:17], v[4:5], off offset:16
	global_load_b64 v[20:21], v[18:19], off offset:24
	s_wait_loadcnt 0x0
	s_wait_xcnt 0xf
	v_dual_add_nc_u32 v7, v7, v21 :: v_dual_add_nc_u32 v6, v6, v20
	global_store_b64 v[16:17], v[6:7], off offset:24
	global_load_b64 v[20:21], v[18:19], off offset:32
	s_wait_loadcnt 0x0
	s_wait_xcnt 0xf
	v_dual_add_nc_u32 v13, v13, v21 :: v_dual_add_nc_u32 v12, v12, v20
	global_store_b64 v[16:17], v[12:13], off offset:32
	global_load_b64 v[20:21], v[18:19], off offset:40
	s_wait_loadcnt 0x0
	s_wait_xcnt 0xf
	v_dual_add_nc_u32 v15, v15, v21 :: v_dual_add_nc_u32 v14, v14, v20
	global_store_b64 v[16:17], v[14:15], off offset:40
	global_load_b64 v[20:21], v[18:19], off offset:48
	s_wait_loadcnt 0x0
	s_wait_xcnt 0xf
	v_dual_add_nc_u32 v9, v9, v21 :: v_dual_add_nc_u32 v8, v8, v20
	global_store_b64 v[16:17], v[8:9], off offset:48
	global_load_b64 v[20:21], v[18:19], off offset:56
	s_wait_loadcnt 0x0
	s_wait_xcnt 0xf
	v_dual_add_nc_u32 v11, v11, v21 :: v_dual_add_nc_u32 v10, v10, v20
	global_store_b64 v[16:17], v[10:11], off offset:56
	global_load_b64 v[20:21], v[18:19], off
	s_wait_loadcnt 0x0
	s_wait_xcnt 0xf
	v_dual_add_nc_u32 v1, v1, v21 :: v_dual_add_nc_u32 v0, v0, v20
	global_store_b64 v[16:17], v[0:1], off
	global_load_b64 v[20:21], v[18:19], off offset:8
	s_wait_loadcnt 0x0
	s_wait_xcnt 0xf
	v_dual_add_nc_u32 v3, v3, v21 :: v_dual_add_nc_u32 v2, v2, v20
	global_store_b64 v[16:17], v[2:3], off offset:8
	global_load_b64 v[20:21], v[18:19], off offset:16
	s_wait_loadcnt 0x0
	s_wait_xcnt 0xf
	v_dual_add_nc_u32 v5, v5, v21 :: v_dual_add_nc_u32 v4, v4, v20
	global_store_b64 v[16:17], v[4:5], off offset:16
	global_load_b64 v[20:21], v[18:19], off offset:24
	s_wait_loadcnt 0x0
	s_wait_xcnt 0xf
	v_dual_add_nc_u32 v7, v7, v21 :: v_dual_add_nc_u32 v6, v6, v20
	global_store_b64 v[16:17], v[6:7], off offset:24
	global_load_b64 v[20:21], v[18:19], off offset:32
	s_wait_loadcnt 0x0
	s_wait_xcnt 0xf
	v_dual_add_nc_u32 v13, v13, v21 :: v_dual_add_nc_u32 v12, v12, v20
	global_store_b64 v[16:17], v[12:13], off offset:32
	global_load_b64 v[20:21], v[18:19], off offset:40
	s_wait_loadcnt 0x0
	s_wait_xcnt 0xf
	v_dual_add_nc_u32 v15, v15, v21 :: v_dual_add_nc_u32 v14, v14, v20
	global_store_b64 v[16:17], v[14:15], off offset:40
	global_load_b64 v[20:21], v[18:19], off offset:48
	s_wait_loadcnt 0x0
	s_wait_xcnt 0xf
	v_dual_add_nc_u32 v9, v9, v21 :: v_dual_add_nc_u32 v8, v8, v20
	global_store_b64 v[16:17], v[8:9], off offset:48
	global_load_b64 v[20:21], v[18:19], off offset:56
	s_wait_loadcnt 0x0
	s_wait_xcnt 0xf
	v_dual_add_nc_u32 v11, v11, v21 :: v_dual_add_nc_u32 v10, v10, v20
	global_store_b64 v[16:17], v[10:11], off offset:56
	global_load_b64 v[20:21], v[18:19], off
	;; [unrolled: 40-line block ×3, first 2 shown]
	s_wait_loadcnt 0x0
	s_wait_xcnt 0xf
	v_dual_add_nc_u32 v1, v1, v21 :: v_dual_add_nc_u32 v0, v0, v20
	global_store_b64 v[16:17], v[0:1], off
	global_load_b64 v[20:21], v[18:19], off offset:8
	s_wait_loadcnt 0x0
	s_wait_xcnt 0xf
	v_dual_add_nc_u32 v3, v3, v21 :: v_dual_add_nc_u32 v2, v2, v20
	global_store_b64 v[16:17], v[2:3], off offset:8
	global_load_b64 v[20:21], v[18:19], off offset:16
	s_wait_loadcnt 0x0
	s_wait_xcnt 0xf
	v_dual_add_nc_u32 v5, v5, v21 :: v_dual_add_nc_u32 v4, v4, v20
	global_store_b64 v[16:17], v[4:5], off offset:16
	;; [unrolled: 5-line block ×7, first 2 shown]
	s_cbranch_scc1 .LBB0_2
.LBB0_3:
	s_endpgm
	.section	.rodata,"a",@progbits
	.p2align	6, 0x0
	.amdhsa_kernel _Z22add_kernel_interleavedP13INTERLEAVED_TPKS_j
		.amdhsa_group_segment_fixed_size 0
		.amdhsa_private_segment_fixed_size 0
		.amdhsa_kernarg_size 280
		.amdhsa_user_sgpr_count 2
		.amdhsa_user_sgpr_dispatch_ptr 0
		.amdhsa_user_sgpr_queue_ptr 0
		.amdhsa_user_sgpr_kernarg_segment_ptr 1
		.amdhsa_user_sgpr_dispatch_id 0
		.amdhsa_user_sgpr_kernarg_preload_length 0
		.amdhsa_user_sgpr_kernarg_preload_offset 0
		.amdhsa_user_sgpr_private_segment_size 0
		.amdhsa_wavefront_size32 1
		.amdhsa_uses_dynamic_stack 0
		.amdhsa_enable_private_segment 0
		.amdhsa_system_sgpr_workgroup_id_x 1
		.amdhsa_system_sgpr_workgroup_id_y 0
		.amdhsa_system_sgpr_workgroup_id_z 0
		.amdhsa_system_sgpr_workgroup_info 0
		.amdhsa_system_vgpr_workitem_id 0
		.amdhsa_next_free_vgpr 22
		.amdhsa_next_free_sgpr 7
		.amdhsa_named_barrier_count 0
		.amdhsa_reserve_vcc 0
		.amdhsa_float_round_mode_32 0
		.amdhsa_float_round_mode_16_64 0
		.amdhsa_float_denorm_mode_32 3
		.amdhsa_float_denorm_mode_16_64 3
		.amdhsa_fp16_overflow 0
		.amdhsa_memory_ordered 1
		.amdhsa_forward_progress 1
		.amdhsa_inst_pref_size 13
		.amdhsa_round_robin_scheduling 0
		.amdhsa_exception_fp_ieee_invalid_op 0
		.amdhsa_exception_fp_denorm_src 0
		.amdhsa_exception_fp_ieee_div_zero 0
		.amdhsa_exception_fp_ieee_overflow 0
		.amdhsa_exception_fp_ieee_underflow 0
		.amdhsa_exception_fp_ieee_inexact 0
		.amdhsa_exception_int_div_zero 0
	.end_amdhsa_kernel
	.text
.Lfunc_end0:
	.size	_Z22add_kernel_interleavedP13INTERLEAVED_TPKS_j, .Lfunc_end0-_Z22add_kernel_interleavedP13INTERLEAVED_TPKS_j
                                        ; -- End function
	.set _Z22add_kernel_interleavedP13INTERLEAVED_TPKS_j.num_vgpr, 22
	.set _Z22add_kernel_interleavedP13INTERLEAVED_TPKS_j.num_agpr, 0
	.set _Z22add_kernel_interleavedP13INTERLEAVED_TPKS_j.numbered_sgpr, 7
	.set _Z22add_kernel_interleavedP13INTERLEAVED_TPKS_j.num_named_barrier, 0
	.set _Z22add_kernel_interleavedP13INTERLEAVED_TPKS_j.private_seg_size, 0
	.set _Z22add_kernel_interleavedP13INTERLEAVED_TPKS_j.uses_vcc, 0
	.set _Z22add_kernel_interleavedP13INTERLEAVED_TPKS_j.uses_flat_scratch, 0
	.set _Z22add_kernel_interleavedP13INTERLEAVED_TPKS_j.has_dyn_sized_stack, 0
	.set _Z22add_kernel_interleavedP13INTERLEAVED_TPKS_j.has_recursion, 0
	.set _Z22add_kernel_interleavedP13INTERLEAVED_TPKS_j.has_indirect_call, 0
	.section	.AMDGPU.csdata,"",@progbits
; Kernel info:
; codeLenInByte = 1616
; TotalNumSgprs: 7
; NumVgprs: 22
; ScratchSize: 0
; MemoryBound: 1
; FloatMode: 240
; IeeeMode: 1
; LDSByteSize: 0 bytes/workgroup (compile time only)
; SGPRBlocks: 0
; VGPRBlocks: 1
; NumSGPRsForWavesPerEU: 7
; NumVGPRsForWavesPerEU: 22
; NamedBarCnt: 0
; Occupancy: 16
; WaveLimiterHint : 1
; COMPUTE_PGM_RSRC2:SCRATCH_EN: 0
; COMPUTE_PGM_RSRC2:USER_SGPR: 2
; COMPUTE_PGM_RSRC2:TRAP_HANDLER: 0
; COMPUTE_PGM_RSRC2:TGID_X_EN: 1
; COMPUTE_PGM_RSRC2:TGID_Y_EN: 0
; COMPUTE_PGM_RSRC2:TGID_Z_EN: 0
; COMPUTE_PGM_RSRC2:TIDIG_COMP_CNT: 0
	.text
	.protected	_Z26add_kernel_non_interleavedP17NON_INTERLEAVED_TPKS_j ; -- Begin function _Z26add_kernel_non_interleavedP17NON_INTERLEAVED_TPKS_j
	.globl	_Z26add_kernel_non_interleavedP17NON_INTERLEAVED_TPKS_j
	.p2align	8
	.type	_Z26add_kernel_non_interleavedP17NON_INTERLEAVED_TPKS_j,@function
_Z26add_kernel_non_interleavedP17NON_INTERLEAVED_TPKS_j: ; @_Z26add_kernel_non_interleavedP17NON_INTERLEAVED_TPKS_j
; %bb.0:
	s_clause 0x1
	s_load_b32 s2, s[0:1], 0x24
	s_load_b32 s3, s[0:1], 0x10
	s_bfe_u32 s4, ttmp6, 0x4000c
	s_and_b32 s5, ttmp6, 15
	s_add_co_i32 s4, s4, 1
	s_getreg_b32 s6, hwreg(HW_REG_IB_STS2, 6, 4)
	s_mul_i32 s4, ttmp9, s4
	s_delay_alu instid0(SALU_CYCLE_1) | instskip(SKIP_4) | instid1(SALU_CYCLE_1)
	s_add_co_i32 s5, s5, s4
	s_wait_kmcnt 0x0
	s_and_b32 s2, s2, 0xffff
	s_cmp_eq_u32 s6, 0
	s_cselect_b32 s4, ttmp9, s5
	v_mad_u32 v0, s4, s2, v0
	s_mov_b32 s2, exec_lo
	s_delay_alu instid0(VALU_DEP_1)
	v_cmpx_gt_u32_e64 s3, v0
	s_cbranch_execz .LBB1_3
; %bb.1:
	s_load_b128 s[0:3], s[0:1], 0x0
	v_mov_b32_e32 v1, 0
	s_wait_kmcnt 0x0
	s_clause 0xf
	global_load_b32 v4, v0, s[0:1] scale_offset
	global_load_b32 v5, v0, s[0:1] offset:16384 scale_offset
	global_load_b32 v6, v0, s[0:1] offset:32768 scale_offset
	;; [unrolled: 1-line block ×15, first 2 shown]
	v_lshlrev_b64_e32 v[2:3], 2, v[0:1]
	s_wait_xcnt 0x0
	s_delay_alu instid0(VALU_DEP_1)
	v_add_nc_u64_e32 v[0:1], s[2:3], v[2:3]
	v_add_nc_u64_e32 v[2:3], s[0:1], v[2:3]
	s_movk_i32 s0, 0x1000
.LBB1_2:                                ; =>This Inner Loop Header: Depth=1
	global_load_b32 v20, v[0:1], off
	s_add_co_i32 s0, s0, -2
	s_delay_alu instid0(SALU_CYCLE_1)
	s_cmp_lg_u32 s0, 0
	s_wait_loadcnt 0x0
	s_wait_xcnt 0x1f
	v_add_nc_u32_e32 v4, v4, v20
	global_store_b32 v[2:3], v4, off
	global_load_b32 v20, v[0:1], off offset:16384
	s_wait_loadcnt 0x0
	s_wait_xcnt 0x1f
	v_add_nc_u32_e32 v5, v5, v20
	global_store_b32 v[2:3], v5, off offset:16384
	global_load_b32 v20, v[0:1], off offset:32768
	s_wait_loadcnt 0x0
	s_wait_xcnt 0x1f
	v_add_nc_u32_e32 v6, v6, v20
	global_store_b32 v[2:3], v6, off offset:32768
	;; [unrolled: 5-line block ×15, first 2 shown]
	global_load_b32 v20, v[0:1], off
	s_wait_loadcnt 0x0
	s_wait_xcnt 0x1f
	v_add_nc_u32_e32 v4, v4, v20
	global_store_b32 v[2:3], v4, off
	global_load_b32 v20, v[0:1], off offset:16384
	s_wait_loadcnt 0x0
	s_wait_xcnt 0x1f
	v_add_nc_u32_e32 v5, v5, v20
	global_store_b32 v[2:3], v5, off offset:16384
	global_load_b32 v20, v[0:1], off offset:32768
	s_wait_loadcnt 0x0
	s_wait_xcnt 0x1f
	v_add_nc_u32_e32 v6, v6, v20
	global_store_b32 v[2:3], v6, off offset:32768
	;; [unrolled: 5-line block ×15, first 2 shown]
	s_cbranch_scc1 .LBB1_2
.LBB1_3:
	s_endpgm
	.section	.rodata,"a",@progbits
	.p2align	6, 0x0
	.amdhsa_kernel _Z26add_kernel_non_interleavedP17NON_INTERLEAVED_TPKS_j
		.amdhsa_group_segment_fixed_size 0
		.amdhsa_private_segment_fixed_size 0
		.amdhsa_kernarg_size 280
		.amdhsa_user_sgpr_count 2
		.amdhsa_user_sgpr_dispatch_ptr 0
		.amdhsa_user_sgpr_queue_ptr 0
		.amdhsa_user_sgpr_kernarg_segment_ptr 1
		.amdhsa_user_sgpr_dispatch_id 0
		.amdhsa_user_sgpr_kernarg_preload_length 0
		.amdhsa_user_sgpr_kernarg_preload_offset 0
		.amdhsa_user_sgpr_private_segment_size 0
		.amdhsa_wavefront_size32 1
		.amdhsa_uses_dynamic_stack 0
		.amdhsa_enable_private_segment 0
		.amdhsa_system_sgpr_workgroup_id_x 1
		.amdhsa_system_sgpr_workgroup_id_y 0
		.amdhsa_system_sgpr_workgroup_id_z 0
		.amdhsa_system_sgpr_workgroup_info 0
		.amdhsa_system_vgpr_workitem_id 0
		.amdhsa_next_free_vgpr 21
		.amdhsa_next_free_sgpr 7
		.amdhsa_named_barrier_count 0
		.amdhsa_reserve_vcc 0
		.amdhsa_float_round_mode_32 0
		.amdhsa_float_round_mode_16_64 0
		.amdhsa_float_denorm_mode_32 3
		.amdhsa_float_denorm_mode_16_64 3
		.amdhsa_fp16_overflow 0
		.amdhsa_memory_ordered 1
		.amdhsa_forward_progress 1
		.amdhsa_inst_pref_size 12
		.amdhsa_round_robin_scheduling 0
		.amdhsa_exception_fp_ieee_invalid_op 0
		.amdhsa_exception_fp_denorm_src 0
		.amdhsa_exception_fp_ieee_div_zero 0
		.amdhsa_exception_fp_ieee_overflow 0
		.amdhsa_exception_fp_ieee_underflow 0
		.amdhsa_exception_fp_ieee_inexact 0
		.amdhsa_exception_int_div_zero 0
	.end_amdhsa_kernel
	.text
.Lfunc_end1:
	.size	_Z26add_kernel_non_interleavedP17NON_INTERLEAVED_TPKS_j, .Lfunc_end1-_Z26add_kernel_non_interleavedP17NON_INTERLEAVED_TPKS_j
                                        ; -- End function
	.set _Z26add_kernel_non_interleavedP17NON_INTERLEAVED_TPKS_j.num_vgpr, 21
	.set _Z26add_kernel_non_interleavedP17NON_INTERLEAVED_TPKS_j.num_agpr, 0
	.set _Z26add_kernel_non_interleavedP17NON_INTERLEAVED_TPKS_j.numbered_sgpr, 7
	.set _Z26add_kernel_non_interleavedP17NON_INTERLEAVED_TPKS_j.num_named_barrier, 0
	.set _Z26add_kernel_non_interleavedP17NON_INTERLEAVED_TPKS_j.private_seg_size, 0
	.set _Z26add_kernel_non_interleavedP17NON_INTERLEAVED_TPKS_j.uses_vcc, 0
	.set _Z26add_kernel_non_interleavedP17NON_INTERLEAVED_TPKS_j.uses_flat_scratch, 0
	.set _Z26add_kernel_non_interleavedP17NON_INTERLEAVED_TPKS_j.has_dyn_sized_stack, 0
	.set _Z26add_kernel_non_interleavedP17NON_INTERLEAVED_TPKS_j.has_recursion, 0
	.set _Z26add_kernel_non_interleavedP17NON_INTERLEAVED_TPKS_j.has_indirect_call, 0
	.section	.AMDGPU.csdata,"",@progbits
; Kernel info:
; codeLenInByte = 1508
; TotalNumSgprs: 7
; NumVgprs: 21
; ScratchSize: 0
; MemoryBound: 1
; FloatMode: 240
; IeeeMode: 1
; LDSByteSize: 0 bytes/workgroup (compile time only)
; SGPRBlocks: 0
; VGPRBlocks: 1
; NumSGPRsForWavesPerEU: 7
; NumVGPRsForWavesPerEU: 21
; NamedBarCnt: 0
; Occupancy: 16
; WaveLimiterHint : 1
; COMPUTE_PGM_RSRC2:SCRATCH_EN: 0
; COMPUTE_PGM_RSRC2:USER_SGPR: 2
; COMPUTE_PGM_RSRC2:TRAP_HANDLER: 0
; COMPUTE_PGM_RSRC2:TGID_X_EN: 1
; COMPUTE_PGM_RSRC2:TGID_Y_EN: 0
; COMPUTE_PGM_RSRC2:TGID_Z_EN: 0
; COMPUTE_PGM_RSRC2:TIDIG_COMP_CNT: 0
	.text
	.p2alignl 7, 3214868480
	.fill 96, 4, 3214868480
	.section	.AMDGPU.gpr_maximums,"",@progbits
	.set amdgpu.max_num_vgpr, 0
	.set amdgpu.max_num_agpr, 0
	.set amdgpu.max_num_sgpr, 0
	.text
	.type	__hip_cuid_3f659973417e6220,@object ; @__hip_cuid_3f659973417e6220
	.section	.bss,"aw",@nobits
	.globl	__hip_cuid_3f659973417e6220
__hip_cuid_3f659973417e6220:
	.byte	0                               ; 0x0
	.size	__hip_cuid_3f659973417e6220, 1

	.ident	"AMD clang version 22.0.0git (https://github.com/RadeonOpenCompute/llvm-project roc-7.2.4 26084 f58b06dce1f9c15707c5f808fd002e18c2accf7e)"
	.section	".note.GNU-stack","",@progbits
	.addrsig
	.addrsig_sym __hip_cuid_3f659973417e6220
	.amdgpu_metadata
---
amdhsa.kernels:
  - .args:
      - .address_space:  global
        .offset:         0
        .size:           8
        .value_kind:     global_buffer
      - .address_space:  global
        .offset:         8
        .size:           8
        .value_kind:     global_buffer
      - .offset:         16
        .size:           4
        .value_kind:     by_value
      - .offset:         24
        .size:           4
        .value_kind:     hidden_block_count_x
      - .offset:         28
        .size:           4
        .value_kind:     hidden_block_count_y
      - .offset:         32
        .size:           4
        .value_kind:     hidden_block_count_z
      - .offset:         36
        .size:           2
        .value_kind:     hidden_group_size_x
      - .offset:         38
        .size:           2
        .value_kind:     hidden_group_size_y
      - .offset:         40
        .size:           2
        .value_kind:     hidden_group_size_z
      - .offset:         42
        .size:           2
        .value_kind:     hidden_remainder_x
      - .offset:         44
        .size:           2
        .value_kind:     hidden_remainder_y
      - .offset:         46
        .size:           2
        .value_kind:     hidden_remainder_z
      - .offset:         64
        .size:           8
        .value_kind:     hidden_global_offset_x
      - .offset:         72
        .size:           8
        .value_kind:     hidden_global_offset_y
      - .offset:         80
        .size:           8
        .value_kind:     hidden_global_offset_z
      - .offset:         88
        .size:           2
        .value_kind:     hidden_grid_dims
    .group_segment_fixed_size: 0
    .kernarg_segment_align: 8
    .kernarg_segment_size: 280
    .language:       OpenCL C
    .language_version:
      - 2
      - 0
    .max_flat_workgroup_size: 1024
    .name:           _Z22add_kernel_interleavedP13INTERLEAVED_TPKS_j
    .private_segment_fixed_size: 0
    .sgpr_count:     7
    .sgpr_spill_count: 0
    .symbol:         _Z22add_kernel_interleavedP13INTERLEAVED_TPKS_j.kd
    .uniform_work_group_size: 1
    .uses_dynamic_stack: false
    .vgpr_count:     22
    .vgpr_spill_count: 0
    .wavefront_size: 32
  - .args:
      - .address_space:  global
        .offset:         0
        .size:           8
        .value_kind:     global_buffer
      - .address_space:  global
        .offset:         8
        .size:           8
        .value_kind:     global_buffer
      - .offset:         16
        .size:           4
        .value_kind:     by_value
      - .offset:         24
        .size:           4
        .value_kind:     hidden_block_count_x
      - .offset:         28
        .size:           4
        .value_kind:     hidden_block_count_y
      - .offset:         32
        .size:           4
        .value_kind:     hidden_block_count_z
      - .offset:         36
        .size:           2
        .value_kind:     hidden_group_size_x
      - .offset:         38
        .size:           2
        .value_kind:     hidden_group_size_y
      - .offset:         40
        .size:           2
        .value_kind:     hidden_group_size_z
      - .offset:         42
        .size:           2
        .value_kind:     hidden_remainder_x
      - .offset:         44
        .size:           2
        .value_kind:     hidden_remainder_y
      - .offset:         46
        .size:           2
        .value_kind:     hidden_remainder_z
      - .offset:         64
        .size:           8
        .value_kind:     hidden_global_offset_x
      - .offset:         72
        .size:           8
        .value_kind:     hidden_global_offset_y
      - .offset:         80
        .size:           8
        .value_kind:     hidden_global_offset_z
      - .offset:         88
        .size:           2
        .value_kind:     hidden_grid_dims
    .group_segment_fixed_size: 0
    .kernarg_segment_align: 8
    .kernarg_segment_size: 280
    .language:       OpenCL C
    .language_version:
      - 2
      - 0
    .max_flat_workgroup_size: 1024
    .name:           _Z26add_kernel_non_interleavedP17NON_INTERLEAVED_TPKS_j
    .private_segment_fixed_size: 0
    .sgpr_count:     7
    .sgpr_spill_count: 0
    .symbol:         _Z26add_kernel_non_interleavedP17NON_INTERLEAVED_TPKS_j.kd
    .uniform_work_group_size: 1
    .uses_dynamic_stack: false
    .vgpr_count:     21
    .vgpr_spill_count: 0
    .wavefront_size: 32
amdhsa.target:   amdgcn-amd-amdhsa--gfx1250
amdhsa.version:
  - 1
  - 2
...

	.end_amdgpu_metadata
